;; amdgpu-corpus repo=ROCm/rocFFT kind=compiled arch=gfx1201 opt=O3
	.text
	.amdgcn_target "amdgcn-amd-amdhsa--gfx1201"
	.amdhsa_code_object_version 6
	.protected	fft_rtc_fwd_len84_factors_7_2_6_wgs_120_tpt_12_halfLds_sp_ip_CI_unitstride_sbrr_C2R_dirReg ; -- Begin function fft_rtc_fwd_len84_factors_7_2_6_wgs_120_tpt_12_halfLds_sp_ip_CI_unitstride_sbrr_C2R_dirReg
	.globl	fft_rtc_fwd_len84_factors_7_2_6_wgs_120_tpt_12_halfLds_sp_ip_CI_unitstride_sbrr_C2R_dirReg
	.p2align	8
	.type	fft_rtc_fwd_len84_factors_7_2_6_wgs_120_tpt_12_halfLds_sp_ip_CI_unitstride_sbrr_C2R_dirReg,@function
fft_rtc_fwd_len84_factors_7_2_6_wgs_120_tpt_12_halfLds_sp_ip_CI_unitstride_sbrr_C2R_dirReg: ; @fft_rtc_fwd_len84_factors_7_2_6_wgs_120_tpt_12_halfLds_sp_ip_CI_unitstride_sbrr_C2R_dirReg
; %bb.0:
	s_load_b128 s[4:7], s[0:1], 0x0
	v_mul_u32_u24_e32 v1, 0x1556, v0
	s_clause 0x1
	s_load_b64 s[8:9], s[0:1], 0x50
	s_load_b64 s[10:11], s[0:1], 0x18
	v_mov_b32_e32 v5, 0
	v_lshrrev_b32_e32 v1, 16, v1
	s_delay_alu instid0(VALU_DEP_1) | instskip(SKIP_3) | instid1(VALU_DEP_1)
	v_mad_co_u64_u32 v[1:2], null, ttmp9, 10, v[1:2]
	v_mov_b32_e32 v3, 0
	v_mov_b32_e32 v4, 0
	;; [unrolled: 1-line block ×4, first 2 shown]
	s_wait_kmcnt 0x0
	v_cmp_lt_u64_e64 s2, s[6:7], 2
	v_mov_b32_e32 v9, v1
	s_delay_alu instid0(VALU_DEP_2)
	s_and_b32 vcc_lo, exec_lo, s2
	s_cbranch_vccnz .LBB0_8
; %bb.1:
	s_load_b64 s[2:3], s[0:1], 0x10
	v_dual_mov_b32 v3, 0 :: v_dual_mov_b32 v8, v2
	v_dual_mov_b32 v4, 0 :: v_dual_mov_b32 v7, v1
	s_add_nc_u64 s[12:13], s[10:11], 8
	s_mov_b64 s[14:15], 1
	s_wait_kmcnt 0x0
	s_add_nc_u64 s[16:17], s[2:3], 8
	s_mov_b32 s3, 0
.LBB0_2:                                ; =>This Inner Loop Header: Depth=1
	s_load_b64 s[18:19], s[16:17], 0x0
                                        ; implicit-def: $vgpr9_vgpr10
	s_mov_b32 s2, exec_lo
	s_wait_kmcnt 0x0
	v_or_b32_e32 v6, s19, v8
	s_delay_alu instid0(VALU_DEP_1)
	v_cmpx_ne_u64_e32 0, v[5:6]
	s_wait_alu 0xfffe
	s_xor_b32 s20, exec_lo, s2
	s_cbranch_execz .LBB0_4
; %bb.3:                                ;   in Loop: Header=BB0_2 Depth=1
	s_cvt_f32_u32 s2, s18
	s_cvt_f32_u32 s21, s19
	s_sub_nc_u64 s[24:25], 0, s[18:19]
	s_wait_alu 0xfffe
	s_delay_alu instid0(SALU_CYCLE_1) | instskip(SKIP_1) | instid1(SALU_CYCLE_2)
	s_fmamk_f32 s2, s21, 0x4f800000, s2
	s_wait_alu 0xfffe
	v_s_rcp_f32 s2, s2
	s_delay_alu instid0(TRANS32_DEP_1) | instskip(SKIP_1) | instid1(SALU_CYCLE_2)
	s_mul_f32 s2, s2, 0x5f7ffffc
	s_wait_alu 0xfffe
	s_mul_f32 s21, s2, 0x2f800000
	s_wait_alu 0xfffe
	s_delay_alu instid0(SALU_CYCLE_2) | instskip(SKIP_1) | instid1(SALU_CYCLE_2)
	s_trunc_f32 s21, s21
	s_wait_alu 0xfffe
	s_fmamk_f32 s2, s21, 0xcf800000, s2
	s_cvt_u32_f32 s23, s21
	s_wait_alu 0xfffe
	s_delay_alu instid0(SALU_CYCLE_1) | instskip(SKIP_1) | instid1(SALU_CYCLE_2)
	s_cvt_u32_f32 s22, s2
	s_wait_alu 0xfffe
	s_mul_u64 s[26:27], s[24:25], s[22:23]
	s_wait_alu 0xfffe
	s_mul_hi_u32 s29, s22, s27
	s_mul_i32 s28, s22, s27
	s_mul_hi_u32 s2, s22, s26
	s_mul_i32 s30, s23, s26
	s_wait_alu 0xfffe
	s_add_nc_u64 s[28:29], s[2:3], s[28:29]
	s_mul_hi_u32 s21, s23, s26
	s_mul_hi_u32 s31, s23, s27
	s_add_co_u32 s2, s28, s30
	s_wait_alu 0xfffe
	s_add_co_ci_u32 s2, s29, s21
	s_mul_i32 s26, s23, s27
	s_add_co_ci_u32 s27, s31, 0
	s_wait_alu 0xfffe
	s_add_nc_u64 s[26:27], s[2:3], s[26:27]
	s_wait_alu 0xfffe
	v_add_co_u32 v2, s2, s22, s26
	s_delay_alu instid0(VALU_DEP_1) | instskip(SKIP_1) | instid1(VALU_DEP_1)
	s_cmp_lg_u32 s2, 0
	s_add_co_ci_u32 s23, s23, s27
	v_readfirstlane_b32 s22, v2
	s_wait_alu 0xfffe
	s_delay_alu instid0(VALU_DEP_1)
	s_mul_u64 s[24:25], s[24:25], s[22:23]
	s_wait_alu 0xfffe
	s_mul_hi_u32 s27, s22, s25
	s_mul_i32 s26, s22, s25
	s_mul_hi_u32 s2, s22, s24
	s_mul_i32 s28, s23, s24
	s_wait_alu 0xfffe
	s_add_nc_u64 s[26:27], s[2:3], s[26:27]
	s_mul_hi_u32 s21, s23, s24
	s_mul_hi_u32 s22, s23, s25
	s_wait_alu 0xfffe
	s_add_co_u32 s2, s26, s28
	s_add_co_ci_u32 s2, s27, s21
	s_mul_i32 s24, s23, s25
	s_add_co_ci_u32 s25, s22, 0
	s_wait_alu 0xfffe
	s_add_nc_u64 s[24:25], s[2:3], s[24:25]
	s_wait_alu 0xfffe
	v_add_co_u32 v2, s2, v2, s24
	s_delay_alu instid0(VALU_DEP_1) | instskip(SKIP_1) | instid1(VALU_DEP_1)
	s_cmp_lg_u32 s2, 0
	s_add_co_ci_u32 s2, s23, s25
	v_mul_hi_u32 v6, v7, v2
	s_wait_alu 0xfffe
	v_mad_co_u64_u32 v[9:10], null, v7, s2, 0
	v_mad_co_u64_u32 v[11:12], null, v8, v2, 0
	;; [unrolled: 1-line block ×3, first 2 shown]
	s_delay_alu instid0(VALU_DEP_3) | instskip(SKIP_1) | instid1(VALU_DEP_4)
	v_add_co_u32 v2, vcc_lo, v6, v9
	s_wait_alu 0xfffd
	v_add_co_ci_u32_e32 v6, vcc_lo, 0, v10, vcc_lo
	s_delay_alu instid0(VALU_DEP_2) | instskip(SKIP_1) | instid1(VALU_DEP_2)
	v_add_co_u32 v2, vcc_lo, v2, v11
	s_wait_alu 0xfffd
	v_add_co_ci_u32_e32 v2, vcc_lo, v6, v12, vcc_lo
	s_wait_alu 0xfffd
	v_add_co_ci_u32_e32 v6, vcc_lo, 0, v14, vcc_lo
	s_delay_alu instid0(VALU_DEP_2) | instskip(SKIP_1) | instid1(VALU_DEP_2)
	v_add_co_u32 v2, vcc_lo, v2, v13
	s_wait_alu 0xfffd
	v_add_co_ci_u32_e32 v6, vcc_lo, 0, v6, vcc_lo
	s_delay_alu instid0(VALU_DEP_2) | instskip(SKIP_1) | instid1(VALU_DEP_3)
	v_mul_lo_u32 v11, s19, v2
	v_mad_co_u64_u32 v[9:10], null, s18, v2, 0
	v_mul_lo_u32 v12, s18, v6
	s_delay_alu instid0(VALU_DEP_2) | instskip(NEXT) | instid1(VALU_DEP_2)
	v_sub_co_u32 v9, vcc_lo, v7, v9
	v_add3_u32 v10, v10, v12, v11
	s_delay_alu instid0(VALU_DEP_1) | instskip(SKIP_1) | instid1(VALU_DEP_1)
	v_sub_nc_u32_e32 v11, v8, v10
	s_wait_alu 0xfffd
	v_subrev_co_ci_u32_e64 v11, s2, s19, v11, vcc_lo
	v_add_co_u32 v12, s2, v2, 2
	s_wait_alu 0xf1ff
	v_add_co_ci_u32_e64 v13, s2, 0, v6, s2
	v_sub_co_u32 v14, s2, v9, s18
	v_sub_co_ci_u32_e32 v10, vcc_lo, v8, v10, vcc_lo
	s_wait_alu 0xf1ff
	v_subrev_co_ci_u32_e64 v11, s2, 0, v11, s2
	s_delay_alu instid0(VALU_DEP_3) | instskip(NEXT) | instid1(VALU_DEP_3)
	v_cmp_le_u32_e32 vcc_lo, s18, v14
	v_cmp_eq_u32_e64 s2, s19, v10
	s_wait_alu 0xfffd
	v_cndmask_b32_e64 v14, 0, -1, vcc_lo
	v_cmp_le_u32_e32 vcc_lo, s19, v11
	s_wait_alu 0xfffd
	v_cndmask_b32_e64 v15, 0, -1, vcc_lo
	v_cmp_le_u32_e32 vcc_lo, s18, v9
	;; [unrolled: 3-line block ×3, first 2 shown]
	s_wait_alu 0xfffd
	v_cndmask_b32_e64 v16, 0, -1, vcc_lo
	v_cmp_eq_u32_e32 vcc_lo, s19, v11
	s_wait_alu 0xf1ff
	s_delay_alu instid0(VALU_DEP_2)
	v_cndmask_b32_e64 v9, v16, v9, s2
	s_wait_alu 0xfffd
	v_cndmask_b32_e32 v11, v15, v14, vcc_lo
	v_add_co_u32 v14, vcc_lo, v2, 1
	s_wait_alu 0xfffd
	v_add_co_ci_u32_e32 v15, vcc_lo, 0, v6, vcc_lo
	s_delay_alu instid0(VALU_DEP_3) | instskip(SKIP_1) | instid1(VALU_DEP_2)
	v_cmp_ne_u32_e32 vcc_lo, 0, v11
	s_wait_alu 0xfffd
	v_dual_cndmask_b32 v10, v15, v13 :: v_dual_cndmask_b32 v11, v14, v12
	v_cmp_ne_u32_e32 vcc_lo, 0, v9
	s_wait_alu 0xfffd
	s_delay_alu instid0(VALU_DEP_2) | instskip(NEXT) | instid1(VALU_DEP_3)
	v_cndmask_b32_e32 v10, v6, v10, vcc_lo
	v_cndmask_b32_e32 v9, v2, v11, vcc_lo
.LBB0_4:                                ;   in Loop: Header=BB0_2 Depth=1
	s_wait_alu 0xfffe
	s_and_not1_saveexec_b32 s2, s20
	s_cbranch_execz .LBB0_6
; %bb.5:                                ;   in Loop: Header=BB0_2 Depth=1
	v_cvt_f32_u32_e32 v2, s18
	s_sub_co_i32 s20, 0, s18
	s_delay_alu instid0(VALU_DEP_1) | instskip(NEXT) | instid1(TRANS32_DEP_1)
	v_rcp_iflag_f32_e32 v2, v2
	v_mul_f32_e32 v2, 0x4f7ffffe, v2
	s_delay_alu instid0(VALU_DEP_1) | instskip(SKIP_1) | instid1(VALU_DEP_1)
	v_cvt_u32_f32_e32 v2, v2
	s_wait_alu 0xfffe
	v_mul_lo_u32 v6, s20, v2
	s_delay_alu instid0(VALU_DEP_1) | instskip(NEXT) | instid1(VALU_DEP_1)
	v_mul_hi_u32 v6, v2, v6
	v_add_nc_u32_e32 v2, v2, v6
	s_delay_alu instid0(VALU_DEP_1) | instskip(NEXT) | instid1(VALU_DEP_1)
	v_mul_hi_u32 v2, v7, v2
	v_mul_lo_u32 v6, v2, s18
	v_add_nc_u32_e32 v9, 1, v2
	s_delay_alu instid0(VALU_DEP_2) | instskip(NEXT) | instid1(VALU_DEP_1)
	v_sub_nc_u32_e32 v6, v7, v6
	v_subrev_nc_u32_e32 v10, s18, v6
	v_cmp_le_u32_e32 vcc_lo, s18, v6
	s_wait_alu 0xfffd
	s_delay_alu instid0(VALU_DEP_2) | instskip(SKIP_2) | instid1(VALU_DEP_3)
	v_cndmask_b32_e32 v6, v6, v10, vcc_lo
	v_mov_b32_e32 v10, v5
	v_cndmask_b32_e32 v2, v2, v9, vcc_lo
	v_cmp_le_u32_e32 vcc_lo, s18, v6
	s_delay_alu instid0(VALU_DEP_2) | instskip(SKIP_1) | instid1(VALU_DEP_1)
	v_add_nc_u32_e32 v9, 1, v2
	s_wait_alu 0xfffd
	v_cndmask_b32_e32 v9, v2, v9, vcc_lo
.LBB0_6:                                ;   in Loop: Header=BB0_2 Depth=1
	s_wait_alu 0xfffe
	s_or_b32 exec_lo, exec_lo, s2
	s_load_b64 s[20:21], s[12:13], 0x0
	v_mul_lo_u32 v2, v10, s18
	v_mul_lo_u32 v6, v9, s19
	v_mad_co_u64_u32 v[11:12], null, v9, s18, 0
	s_add_nc_u64 s[14:15], s[14:15], 1
	s_add_nc_u64 s[12:13], s[12:13], 8
	s_wait_alu 0xfffe
	v_cmp_ge_u64_e64 s2, s[14:15], s[6:7]
	s_add_nc_u64 s[16:17], s[16:17], 8
	s_delay_alu instid0(VALU_DEP_2) | instskip(NEXT) | instid1(VALU_DEP_3)
	v_add3_u32 v2, v12, v6, v2
	v_sub_co_u32 v6, vcc_lo, v7, v11
	s_wait_alu 0xfffd
	s_delay_alu instid0(VALU_DEP_2) | instskip(SKIP_3) | instid1(VALU_DEP_2)
	v_sub_co_ci_u32_e32 v2, vcc_lo, v8, v2, vcc_lo
	s_and_b32 vcc_lo, exec_lo, s2
	s_wait_kmcnt 0x0
	v_mul_lo_u32 v7, s21, v6
	v_mul_lo_u32 v2, s20, v2
	v_mad_co_u64_u32 v[3:4], null, s20, v6, v[3:4]
	s_delay_alu instid0(VALU_DEP_1)
	v_add3_u32 v4, v7, v4, v2
	s_wait_alu 0xfffe
	s_cbranch_vccnz .LBB0_8
; %bb.7:                                ;   in Loop: Header=BB0_2 Depth=1
	v_dual_mov_b32 v7, v9 :: v_dual_mov_b32 v8, v10
	s_branch .LBB0_2
.LBB0_8:
	s_lshl_b64 s[2:3], s[6:7], 3
	v_mul_hi_u32 v2, 0xcccccccd, v1
	s_wait_alu 0xfffe
	s_add_nc_u64 s[2:3], s[10:11], s[2:3]
	s_load_b64 s[0:1], s[0:1], 0x20
	s_load_b64 s[2:3], s[2:3], 0x0
	v_mul_hi_u32 v5, 0x15555556, v0
	s_delay_alu instid0(VALU_DEP_2) | instskip(NEXT) | instid1(VALU_DEP_2)
	v_lshrrev_b32_e32 v2, 3, v2
	v_mul_u32_u24_e32 v5, 12, v5
	s_delay_alu instid0(VALU_DEP_2) | instskip(NEXT) | instid1(VALU_DEP_2)
	v_mul_lo_u32 v2, v2, 10
	v_sub_nc_u32_e32 v20, v0, v5
	s_delay_alu instid0(VALU_DEP_2)
	v_sub_nc_u32_e32 v1, v1, v2
	s_wait_kmcnt 0x0
	v_cmp_gt_u64_e32 vcc_lo, s[0:1], v[9:10]
	v_mul_lo_u32 v6, s2, v10
	v_mul_lo_u32 v7, s3, v9
	v_mad_co_u64_u32 v[3:4], null, s2, v9, v[3:4]
	v_mul_u32_u24_e32 v2, 0x55, v1
	s_delay_alu instid0(VALU_DEP_1) | instskip(NEXT) | instid1(VALU_DEP_3)
	v_lshlrev_b32_e32 v16, 3, v2
	v_add3_u32 v4, v7, v4, v6
	s_delay_alu instid0(VALU_DEP_1)
	v_lshlrev_b64_e32 v[22:23], 3, v[3:4]
	s_and_saveexec_b32 s1, vcc_lo
	s_cbranch_execz .LBB0_12
; %bb.9:
	v_mov_b32_e32 v21, 0
	s_delay_alu instid0(VALU_DEP_2) | instskip(SKIP_2) | instid1(VALU_DEP_3)
	v_add_co_u32 v0, s0, s8, v22
	s_wait_alu 0xf1ff
	v_add_co_ci_u32_e64 v1, s0, s9, v23, s0
	v_lshlrev_b64_e32 v[3:4], 3, v[20:21]
	s_mov_b32 s2, exec_lo
	s_delay_alu instid0(VALU_DEP_1) | instskip(SKIP_1) | instid1(VALU_DEP_2)
	v_add_co_u32 v3, s0, v0, v3
	s_wait_alu 0xf1ff
	v_add_co_ci_u32_e64 v4, s0, v1, v4, s0
	s_clause 0x6
	global_load_b64 v[5:6], v[3:4], off
	global_load_b64 v[7:8], v[3:4], off offset:96
	global_load_b64 v[9:10], v[3:4], off offset:192
	;; [unrolled: 1-line block ×6, first 2 shown]
	v_lshlrev_b32_e32 v3, 3, v20
	s_delay_alu instid0(VALU_DEP_1)
	v_add3_u32 v3, 0, v16, v3
	s_wait_loadcnt 0x5
	ds_store_2addr_b64 v3, v[5:6], v[7:8] offset1:12
	s_wait_loadcnt 0x3
	ds_store_2addr_b64 v3, v[9:10], v[11:12] offset0:24 offset1:36
	s_wait_loadcnt 0x1
	ds_store_2addr_b64 v3, v[13:14], v[17:18] offset0:48 offset1:60
	s_wait_loadcnt 0x0
	ds_store_b64 v3, v[24:25] offset:576
	v_cmpx_eq_u32_e32 11, v20
	s_cbranch_execz .LBB0_11
; %bb.10:
	global_load_b64 v[0:1], v[0:1], off offset:672
	v_mov_b32_e32 v20, 11
	s_wait_loadcnt 0x0
	ds_store_b64 v3, v[0:1] offset:584
.LBB0_11:
	s_wait_alu 0xfffe
	s_or_b32 exec_lo, exec_lo, s2
.LBB0_12:
	s_wait_alu 0xfffe
	s_or_b32 exec_lo, exec_lo, s1
	v_lshl_add_u32 v28, v2, 3, 0
	v_lshlrev_b32_e32 v4, 3, v20
	global_wb scope:SCOPE_SE
	s_wait_dscnt 0x0
	s_barrier_signal -1
	s_barrier_wait -1
	global_inv scope:SCOPE_SE
	v_add_nc_u32_e32 v24, v28, v4
	v_sub_nc_u32_e32 v5, v28, v4
	s_mov_b32 s1, exec_lo
                                        ; implicit-def: $vgpr2_vgpr3
	ds_load_b32 v6, v24
	ds_load_b32 v7, v5 offset:672
	s_wait_dscnt 0x0
	v_dual_sub_f32 v1, v6, v7 :: v_dual_add_f32 v0, v7, v6
	v_cmpx_ne_u32_e32 0, v20
	s_wait_alu 0xfffe
	s_xor_b32 s1, exec_lo, s1
	s_cbranch_execz .LBB0_14
; %bb.13:
	v_dual_mov_b32 v21, 0 :: v_dual_add_f32 v8, v7, v6
	s_delay_alu instid0(VALU_DEP_1) | instskip(NEXT) | instid1(VALU_DEP_1)
	v_lshlrev_b64_e32 v[0:1], 3, v[20:21]
	v_add_co_u32 v0, s0, s4, v0
	s_wait_alu 0xf1ff
	s_delay_alu instid0(VALU_DEP_2)
	v_add_co_ci_u32_e64 v1, s0, s5, v1, s0
	global_load_b64 v[2:3], v[0:1], off offset:616
	ds_load_b32 v0, v5 offset:676
	ds_load_b32 v1, v24 offset:4
	s_wait_dscnt 0x0
	v_dual_sub_f32 v9, v6, v7 :: v_dual_add_f32 v10, v0, v1
	v_sub_f32_e32 v0, v1, v0
	s_wait_loadcnt 0x0
	s_delay_alu instid0(VALU_DEP_2) | instskip(NEXT) | instid1(VALU_DEP_2)
	v_fma_f32 v6, -v9, v3, v8
	v_fma_f32 v7, v10, v3, -v0
	v_fma_f32 v11, v9, v3, v8
	v_fma_f32 v1, v10, v3, v0
	s_delay_alu instid0(VALU_DEP_4) | instskip(NEXT) | instid1(VALU_DEP_4)
	v_fmac_f32_e32 v6, v2, v10
	v_fmac_f32_e32 v7, v9, v2
	s_delay_alu instid0(VALU_DEP_4) | instskip(NEXT) | instid1(VALU_DEP_4)
	v_fma_f32 v0, -v2, v10, v11
	v_dual_fmac_f32 v1, v9, v2 :: v_dual_mov_b32 v2, v20
	v_mov_b32_e32 v3, v21
	ds_store_b64 v5, v[6:7] offset:672
.LBB0_14:
	s_wait_alu 0xfffe
	s_and_not1_saveexec_b32 s0, s1
	s_cbranch_execz .LBB0_16
; %bb.15:
	ds_load_b64 v[2:3], v28 offset:336
	s_wait_dscnt 0x0
	v_dual_add_f32 v6, v2, v2 :: v_dual_mul_f32 v7, -2.0, v3
	v_mov_b32_e32 v2, 0
	v_mov_b32_e32 v3, 0
	ds_store_b64 v28, v[6:7] offset:336
.LBB0_16:
	s_wait_alu 0xfffe
	s_or_b32 exec_lo, exec_lo, s0
	v_lshlrev_b64_e32 v[2:3], 3, v[2:3]
	s_add_nc_u64 s[0:1], s[4:5], 0x268
	s_wait_alu 0xfffe
	s_delay_alu instid0(VALU_DEP_1) | instskip(SKIP_1) | instid1(VALU_DEP_2)
	v_add_co_u32 v2, s0, s0, v2
	s_wait_alu 0xf1ff
	v_add_co_ci_u32_e64 v3, s0, s1, v3, s0
	v_cmp_gt_u32_e64 s0, 6, v20
	s_clause 0x1
	global_load_b64 v[6:7], v[2:3], off offset:96
	global_load_b64 v[8:9], v[2:3], off offset:192
	ds_store_b64 v24, v[0:1]
	ds_load_b64 v[0:1], v24 offset:96
	ds_load_b64 v[10:11], v5 offset:576
	s_wait_dscnt 0x0
	v_dual_add_f32 v12, v0, v10 :: v_dual_add_f32 v13, v11, v1
	v_sub_f32_e32 v14, v0, v10
	v_sub_f32_e32 v0, v1, v11
	s_wait_loadcnt 0x1
	s_delay_alu instid0(VALU_DEP_1) | instskip(NEXT) | instid1(VALU_DEP_3)
	v_fma_f32 v1, v13, v7, v0
	v_fma_f32 v15, v14, v7, v12
	v_fma_f32 v10, -v14, v7, v12
	s_delay_alu instid0(VALU_DEP_3) | instskip(SKIP_1) | instid1(VALU_DEP_4)
	v_fmac_f32_e32 v1, v14, v6
	v_fma_f32 v11, v13, v7, -v0
	v_fma_f32 v0, -v6, v13, v15
	s_delay_alu instid0(VALU_DEP_4) | instskip(NEXT) | instid1(VALU_DEP_3)
	v_fmac_f32_e32 v10, v6, v13
	v_fmac_f32_e32 v11, v14, v6
	ds_store_b64 v24, v[0:1] offset:96
	ds_store_b64 v5, v[10:11] offset:576
	ds_load_b64 v[0:1], v24 offset:192
	ds_load_b64 v[6:7], v5 offset:480
	s_wait_dscnt 0x0
	v_dual_add_f32 v10, v0, v6 :: v_dual_add_f32 v11, v7, v1
	v_sub_f32_e32 v12, v0, v6
	v_sub_f32_e32 v0, v1, v7
	s_wait_loadcnt 0x0
	s_delay_alu instid0(VALU_DEP_2) | instskip(NEXT) | instid1(VALU_DEP_2)
	v_fma_f32 v13, v12, v9, v10
	v_fma_f32 v1, v11, v9, v0
	v_fma_f32 v6, -v12, v9, v10
	v_fma_f32 v7, v11, v9, -v0
	s_delay_alu instid0(VALU_DEP_4) | instskip(NEXT) | instid1(VALU_DEP_4)
	v_fma_f32 v0, -v8, v11, v13
	v_fmac_f32_e32 v1, v12, v8
	s_delay_alu instid0(VALU_DEP_4) | instskip(NEXT) | instid1(VALU_DEP_4)
	v_fmac_f32_e32 v6, v8, v11
	v_fmac_f32_e32 v7, v12, v8
	ds_store_b64 v24, v[0:1] offset:192
	ds_store_b64 v5, v[6:7] offset:480
	s_and_saveexec_b32 s1, s0
	s_cbranch_execz .LBB0_18
; %bb.17:
	global_load_b64 v[0:1], v[2:3], off offset:288
	ds_load_b64 v[2:3], v24 offset:288
	ds_load_b64 v[6:7], v5 offset:384
	s_wait_dscnt 0x0
	v_dual_add_f32 v8, v2, v6 :: v_dual_add_f32 v9, v7, v3
	v_dual_sub_f32 v10, v2, v6 :: v_dual_sub_f32 v3, v3, v7
	s_wait_loadcnt 0x0
	s_delay_alu instid0(VALU_DEP_1) | instskip(NEXT) | instid1(VALU_DEP_2)
	v_fma_f32 v11, v10, v1, v8
	v_fma_f32 v2, v9, v1, v3
	v_fma_f32 v6, -v10, v1, v8
	v_fma_f32 v7, v9, v1, -v3
	s_delay_alu instid0(VALU_DEP_4) | instskip(NEXT) | instid1(VALU_DEP_4)
	v_fma_f32 v1, -v0, v9, v11
	v_fmac_f32_e32 v2, v10, v0
	s_delay_alu instid0(VALU_DEP_3)
	v_dual_fmac_f32 v6, v0, v9 :: v_dual_fmac_f32 v7, v10, v0
	ds_store_b64 v24, v[1:2] offset:288
	ds_store_b64 v5, v[6:7] offset:384
.LBB0_18:
	s_wait_alu 0xfffe
	s_or_b32 exec_lo, exec_lo, s1
	v_add3_u32 v21, 0, v4, v16
	global_wb scope:SCOPE_SE
	s_wait_dscnt 0x0
	s_barrier_signal -1
	s_barrier_wait -1
	global_inv scope:SCOPE_SE
	global_wb scope:SCOPE_SE
	s_barrier_signal -1
	s_barrier_wait -1
	global_inv scope:SCOPE_SE
	ds_load_2addr_b64 v[0:3], v21 offset0:12 offset1:24
	ds_load_2addr_b64 v[4:7], v21 offset0:60 offset1:72
	;; [unrolled: 1-line block ×3, first 2 shown]
	ds_load_b64 v[12:13], v24
	global_wb scope:SCOPE_SE
	s_wait_dscnt 0x0
	s_barrier_signal -1
	s_barrier_wait -1
	global_inv scope:SCOPE_SE
	v_dual_add_f32 v14, v0, v6 :: v_dual_add_f32 v15, v1, v7
	v_dual_sub_f32 v0, v0, v6 :: v_dual_sub_f32 v1, v1, v7
	v_dual_add_f32 v6, v2, v4 :: v_dual_add_f32 v7, v3, v5
	v_dual_sub_f32 v2, v2, v4 :: v_dual_sub_f32 v3, v3, v5
	;; [unrolled: 2-line block ×3, first 2 shown]
	s_delay_alu instid0(VALU_DEP_4) | instskip(SKIP_1) | instid1(VALU_DEP_4)
	v_dual_add_f32 v10, v6, v14 :: v_dual_add_f32 v11, v7, v15
	v_dual_sub_f32 v17, v6, v14 :: v_dual_sub_f32 v18, v7, v15
	v_dual_sub_f32 v14, v14, v4 :: v_dual_sub_f32 v15, v15, v5
	;; [unrolled: 1-line block ×3, first 2 shown]
	v_dual_add_f32 v25, v9, v3 :: v_dual_sub_f32 v26, v8, v2
	v_sub_f32_e32 v27, v9, v3
	v_dual_sub_f32 v9, v1, v9 :: v_dual_add_f32 v4, v4, v10
	v_dual_add_f32 v19, v8, v2 :: v_dual_sub_f32 v10, v3, v1
	v_sub_f32_e32 v29, v2, v0
	v_add_f32_e32 v5, v5, v11
	s_delay_alu instid0(VALU_DEP_4) | instskip(SKIP_1) | instid1(VALU_DEP_3)
	v_dual_add_f32 v1, v25, v1 :: v_dual_add_f32 v2, v12, v4
	v_sub_f32_e32 v8, v0, v8
	v_dual_add_f32 v0, v19, v0 :: v_dual_add_f32 v3, v13, v5
	v_mul_f32_e32 v12, 0x3f4a47b2, v15
	s_delay_alu instid0(VALU_DEP_4) | instskip(SKIP_4) | instid1(VALU_DEP_4)
	v_fmamk_f32 v4, v4, 0xbf955555, v2
	v_mul_f32_e32 v11, 0x3f4a47b2, v14
	v_dual_mul_f32 v14, 0x3d64c772, v7 :: v_dual_mul_f32 v13, 0x3d64c772, v6
	v_mul_f32_e32 v25, 0x3f5ff5aa, v29
	v_fmamk_f32 v5, v5, 0xbf955555, v3
	v_dual_fmamk_f32 v6, v6, 0x3d64c772, v11 :: v_dual_fmamk_f32 v7, v7, 0x3d64c772, v12
	s_delay_alu instid0(VALU_DEP_4)
	v_fma_f32 v14, 0x3f3bfb3b, v18, -v14
	v_mul_f32_e32 v15, 0xbf08b237, v26
	v_mul_f32_e32 v26, 0x3f5ff5aa, v10
	v_fma_f32 v12, 0xbf3bfb3b, v18, -v12
	v_mul_f32_e32 v19, 0xbf08b237, v27
	v_fma_f32 v13, 0x3f3bfb3b, v17, -v13
	v_add_f32_e32 v14, v14, v5
	s_delay_alu instid0(VALU_DEP_4) | instskip(NEXT) | instid1(VALU_DEP_4)
	v_add_f32_e32 v30, v12, v5
	v_fmamk_f32 v18, v9, 0x3eae86e6, v19
	v_fma_f32 v10, 0x3f5ff5aa, v10, -v19
	v_fma_f32 v19, 0xbeae86e6, v8, -v25
	;; [unrolled: 1-line block ×3, first 2 shown]
	v_add_f32_e32 v26, v6, v4
	v_fma_f32 v11, 0xbf3bfb3b, v17, -v11
	v_dual_add_f32 v13, v13, v4 :: v_dual_fmac_f32 v18, 0x3ee1c552, v1
	s_delay_alu instid0(VALU_DEP_4) | instskip(SKIP_4) | instid1(VALU_DEP_2)
	v_fmac_f32_e32 v25, 0x3ee1c552, v1
	v_fmamk_f32 v17, v8, 0x3eae86e6, v15
	v_fma_f32 v15, 0x3f5ff5aa, v29, -v15
	v_dual_add_f32 v29, v11, v4 :: v_dual_fmac_f32 v10, 0x3ee1c552, v1
	v_dual_add_f32 v4, v26, v18 :: v_dual_add_f32 v27, v7, v5
	v_dual_fmac_f32 v15, 0x3ee1c552, v0 :: v_dual_add_f32 v6, v25, v29
	s_delay_alu instid0(VALU_DEP_3) | instskip(SKIP_1) | instid1(VALU_DEP_3)
	v_dual_fmac_f32 v17, 0x3ee1c552, v0 :: v_dual_sub_f32 v8, v13, v10
	v_dual_fmac_f32 v19, 0x3ee1c552, v0 :: v_dual_add_f32 v10, v10, v13
	v_add_f32_e32 v9, v15, v14
	s_delay_alu instid0(VALU_DEP_3)
	v_sub_f32_e32 v5, v27, v17
	v_sub_f32_e32 v11, v14, v15
	v_mad_u32_u24 v14, v20, 48, v21
	v_sub_f32_e32 v0, v26, v18
	v_dual_sub_f32 v12, v29, v25 :: v_dual_sub_f32 v7, v30, v19
	v_add_f32_e32 v13, v19, v30
	v_add_f32_e32 v1, v17, v27
	ds_store_2addr_b64 v14, v[2:3], v[4:5] offset1:1
	ds_store_2addr_b64 v14, v[6:7], v[8:9] offset0:2 offset1:3
	ds_store_2addr_b64 v14, v[10:11], v[12:13] offset0:4 offset1:5
	ds_store_b64 v14, v[0:1] offset:48
	global_wb scope:SCOPE_SE
	s_wait_dscnt 0x0
	s_barrier_signal -1
	s_barrier_wait -1
	global_inv scope:SCOPE_SE
	ds_load_2addr_b64 v[8:11], v21 offset0:42 offset1:54
	ds_load_2addr_b64 v[4:7], v21 offset0:12 offset1:24
	ds_load_b64 v[14:15], v24
	ds_load_b64 v[12:13], v21 offset:528
	s_and_saveexec_b32 s1, s0
	s_cbranch_execz .LBB0_20
; %bb.19:
	ds_load_2addr_b64 v[0:3], v21 offset0:36 offset1:78
.LBB0_20:
	s_wait_alu 0xfffe
	s_or_b32 exec_lo, exec_lo, s1
	v_add_nc_u16 v17, v20, 24
	v_add_nc_u32_e32 v29, 12, v20
	v_add_nc_u16 v27, v20, 36
	v_add_nc_u32_e32 v33, -7, v20
	v_cmp_gt_u32_e64 s1, 7, v20
	v_and_b32_e32 v19, 0xff, v17
	v_and_b32_e32 v18, 0xff, v29
	;; [unrolled: 1-line block ×3, first 2 shown]
	s_delay_alu instid0(VALU_DEP_3) | instskip(NEXT) | instid1(VALU_DEP_2)
	v_mul_lo_u16 v19, v19, 37
	v_mul_lo_u16 v25, v25, 37
	s_delay_alu instid0(VALU_DEP_2) | instskip(NEXT) | instid1(VALU_DEP_2)
	v_lshrrev_b16 v30, 8, v19
	v_lshrrev_b16 v31, 8, v25
	s_delay_alu instid0(VALU_DEP_2) | instskip(NEXT) | instid1(VALU_DEP_2)
	v_sub_nc_u16 v19, v17, v30
	v_sub_nc_u16 v25, v27, v31
	s_delay_alu instid0(VALU_DEP_2) | instskip(SKIP_2) | instid1(VALU_DEP_4)
	v_lshrrev_b16 v32, 1, v19
	v_mov_b32_e32 v19, 0
	v_mul_lo_u16 v18, v18, 37
	v_lshrrev_b16 v25, 1, v25
	s_delay_alu instid0(VALU_DEP_2) | instskip(NEXT) | instid1(VALU_DEP_1)
	v_lshrrev_b16 v26, 8, v18
	v_sub_nc_u16 v18, v29, v26
	s_delay_alu instid0(VALU_DEP_1) | instskip(NEXT) | instid1(VALU_DEP_1)
	v_lshrrev_b16 v18, 1, v18
	v_and_b32_e32 v34, 0x7f, v18
	s_wait_alu 0xf1ff
	v_cndmask_b32_e64 v18, v33, v20, s1
	v_and_b32_e32 v33, 0x7f, v25
	s_delay_alu instid0(VALU_DEP_3) | instskip(NEXT) | instid1(VALU_DEP_3)
	v_add_nc_u16 v34, v34, v26
	v_lshlrev_b64_e32 v[25:26], 3, v[18:19]
	s_delay_alu instid0(VALU_DEP_3) | instskip(NEXT) | instid1(VALU_DEP_3)
	v_add_nc_u16 v19, v33, v31
	v_lshrrev_b16 v36, 2, v34
	s_delay_alu instid0(VALU_DEP_3) | instskip(SKIP_1) | instid1(VALU_DEP_4)
	v_add_co_u32 v25, s1, s4, v25
	s_wait_alu 0xf1ff
	v_add_co_ci_u32_e64 v26, s1, s5, v26, s1
	v_lshrrev_b16 v19, 2, v19
	v_cmp_lt_u32_e64 s1, 6, v20
	global_load_b64 v[25:26], v[25:26], off
	v_mul_lo_u16 v19, v19, 7
	s_delay_alu instid0(VALU_DEP_1) | instskip(NEXT) | instid1(VALU_DEP_1)
	v_sub_nc_u16 v19, v27, v19
	v_and_b32_e32 v19, 0xff, v19
	s_wait_loadcnt_dscnt 0x3
	v_mul_f32_e32 v39, v26, v9
	v_mul_f32_e32 v26, v26, v8
	s_delay_alu instid0(VALU_DEP_2) | instskip(NEXT) | instid1(VALU_DEP_2)
	v_fma_f32 v8, v25, v8, -v39
	v_fmac_f32_e32 v26, v25, v9
	v_and_b32_e32 v32, 0x7f, v32
	s_wait_dscnt 0x1
	s_delay_alu instid0(VALU_DEP_2) | instskip(NEXT) | instid1(VALU_DEP_2)
	v_dual_sub_f32 v8, v14, v8 :: v_dual_sub_f32 v9, v15, v26
	v_add_nc_u16 v30, v32, v30
	s_delay_alu instid0(VALU_DEP_2) | instskip(NEXT) | instid1(VALU_DEP_3)
	v_fma_f32 v14, v14, 2.0, -v8
	v_fma_f32 v15, v15, 2.0, -v9
	s_delay_alu instid0(VALU_DEP_3) | instskip(SKIP_1) | instid1(VALU_DEP_2)
	v_lshrrev_b16 v37, 2, v30
	v_mul_lo_u16 v30, v36, 7
	v_mul_lo_u16 v31, v37, 7
	s_delay_alu instid0(VALU_DEP_2) | instskip(SKIP_1) | instid1(VALU_DEP_3)
	v_sub_nc_u16 v30, v29, v30
	v_and_b32_e32 v37, 0xffff, v37
	v_sub_nc_u16 v17, v17, v31
	s_delay_alu instid0(VALU_DEP_3) | instskip(NEXT) | instid1(VALU_DEP_3)
	v_and_b32_e32 v27, 0xff, v30
	v_mad_u32_u24 v25, 0x70, v37, 0
	s_delay_alu instid0(VALU_DEP_3) | instskip(NEXT) | instid1(VALU_DEP_3)
	v_and_b32_e32 v17, 0xff, v17
	v_lshlrev_b32_e32 v27, 3, v27
	s_delay_alu instid0(VALU_DEP_2)
	v_lshlrev_b32_e32 v38, 3, v17
	v_lshlrev_b32_e32 v17, 3, v19
	s_clause 0x2
	global_load_b64 v[30:31], v27, s[4:5]
	global_load_b64 v[32:33], v38, s[4:5]
	;; [unrolled: 1-line block ×3, first 2 shown]
	s_wait_alu 0xf1ff
	v_cndmask_b32_e64 v19, 0, 0x70, s1
	v_lshlrev_b32_e32 v18, 3, v18
	v_and_b32_e32 v36, 0xffff, v36
	global_wb scope:SCOPE_SE
	s_wait_loadcnt_dscnt 0x0
	s_barrier_signal -1
	v_add_nc_u32_e32 v19, 0, v19
	s_barrier_wait -1
	global_inv scope:SCOPE_SE
	v_add3_u32 v18, v19, v18, v16
	v_mad_u32_u24 v19, 0x70, v36, 0
	s_delay_alu instid0(VALU_DEP_1)
	v_add3_u32 v19, v19, v27, v16
	v_mul_f32_e32 v26, v31, v11
	v_mul_f32_e32 v27, v31, v10
	;; [unrolled: 1-line block ×6, first 2 shown]
	v_fma_f32 v10, v30, v10, -v26
	v_fma_f32 v2, v2, v34, -v36
	v_fmac_f32_e32 v35, v3, v34
	v_fmac_f32_e32 v27, v30, v11
	v_fma_f32 v12, v32, v12, -v31
	v_fmac_f32_e32 v33, v32, v13
	s_delay_alu instid0(VALU_DEP_4) | instskip(NEXT) | instid1(VALU_DEP_4)
	v_dual_sub_f32 v2, v0, v2 :: v_dual_sub_f32 v3, v1, v35
	v_dual_sub_f32 v10, v4, v10 :: v_dual_sub_f32 v11, v5, v27
	s_delay_alu instid0(VALU_DEP_3) | instskip(NEXT) | instid1(VALU_DEP_3)
	v_dual_sub_f32 v12, v6, v12 :: v_dual_sub_f32 v13, v7, v33
	v_fma_f32 v0, v0, 2.0, -v2
	s_delay_alu instid0(VALU_DEP_4) | instskip(NEXT) | instid1(VALU_DEP_4)
	v_fma_f32 v1, v1, 2.0, -v3
	v_fma_f32 v4, v4, 2.0, -v10
	;; [unrolled: 1-line block ×3, first 2 shown]
	v_add3_u32 v25, v25, v38, v16
	v_fma_f32 v6, v6, 2.0, -v12
	v_fma_f32 v7, v7, 2.0, -v13
	ds_store_2addr_b64 v18, v[14:15], v[8:9] offset1:7
	ds_store_2addr_b64 v19, v[4:5], v[10:11] offset1:7
	;; [unrolled: 1-line block ×3, first 2 shown]
	s_and_saveexec_b32 s1, s0
	s_cbranch_execz .LBB0_22
; %bb.21:
	v_add3_u32 v4, 0, v17, v16
	ds_store_2addr_b64 v4, v[0:1], v[2:3] offset0:70 offset1:77
.LBB0_22:
	s_wait_alu 0xfffe
	s_or_b32 exec_lo, exec_lo, s1
	global_wb scope:SCOPE_SE
	s_wait_dscnt 0x0
	s_barrier_signal -1
	s_barrier_wait -1
	global_inv scope:SCOPE_SE
	ds_load_2addr_b64 v[16:19], v21 offset0:14 offset1:28
	ds_load_2addr_b64 v[12:15], v21 offset0:42 offset1:56
	ds_load_b64 v[24:25], v24
	ds_load_b64 v[26:27], v21 offset:560
	v_cmp_gt_u32_e64 s0, 2, v20
                                        ; implicit-def: $vgpr11
                                        ; implicit-def: $vgpr7
	s_delay_alu instid0(VALU_DEP_1)
	s_and_saveexec_b32 s1, s0
	s_cbranch_execz .LBB0_24
; %bb.23:
	ds_load_2addr_b64 v[0:3], v21 offset0:12 offset1:26
	ds_load_2addr_b64 v[4:7], v21 offset0:40 offset1:54
	;; [unrolled: 1-line block ×3, first 2 shown]
.LBB0_24:
	s_wait_alu 0xfffe
	s_or_b32 exec_lo, exec_lo, s1
	v_mul_u32_u24_e32 v30, 5, v20
	s_delay_alu instid0(VALU_DEP_1)
	v_lshlrev_b32_e32 v38, 3, v30
	s_clause 0x2
	global_load_b128 v[30:33], v38, s[4:5] offset:56
	global_load_b128 v[34:37], v38, s[4:5] offset:72
	global_load_b64 v[38:39], v38, s[4:5] offset:88
	global_wb scope:SCOPE_SE
	s_wait_loadcnt_dscnt 0x0
	s_barrier_signal -1
	s_barrier_wait -1
	global_inv scope:SCOPE_SE
	v_dual_mul_f32 v40, v31, v17 :: v_dual_mul_f32 v41, v33, v19
	v_mul_f32_e32 v31, v31, v16
	v_dual_mul_f32 v33, v33, v18 :: v_dual_mul_f32 v42, v35, v13
	s_delay_alu instid0(VALU_DEP_3) | instskip(NEXT) | instid1(VALU_DEP_3)
	v_fma_f32 v16, v30, v16, -v40
	v_dual_mul_f32 v44, v39, v27 :: v_dual_fmac_f32 v31, v30, v17
	v_fma_f32 v17, v32, v18, -v41
	v_mul_f32_e32 v35, v35, v12
	v_fma_f32 v12, v34, v12, -v42
	v_mul_f32_e32 v43, v37, v15
	v_mul_f32_e32 v37, v37, v14
	s_delay_alu instid0(VALU_DEP_3) | instskip(NEXT) | instid1(VALU_DEP_3)
	v_dual_fmac_f32 v35, v34, v13 :: v_dual_add_f32 v30, v16, v12
	v_fma_f32 v13, v36, v14, -v43
	v_fma_f32 v14, v38, v26, -v44
	s_delay_alu instid0(VALU_DEP_4) | instskip(SKIP_1) | instid1(VALU_DEP_4)
	v_fmac_f32_e32 v37, v36, v15
	v_fmac_f32_e32 v33, v32, v19
	v_dual_mul_f32 v39, v39, v26 :: v_dual_add_f32 v18, v17, v13
	s_delay_alu instid0(VALU_DEP_4) | instskip(SKIP_1) | instid1(VALU_DEP_3)
	v_add_f32_e32 v32, v12, v14
	v_sub_f32_e32 v12, v12, v14
	v_dual_add_f32 v26, v25, v33 :: v_dual_fmac_f32 v39, v38, v27
	v_dual_add_f32 v15, v24, v17 :: v_dual_add_f32 v34, v31, v35
	v_fma_f32 v24, -0.5, v18, v24
	v_add_f32_e32 v14, v30, v14
	s_delay_alu instid0(VALU_DEP_4) | instskip(SKIP_4) | instid1(VALU_DEP_3)
	v_add_f32_e32 v18, v26, v37
	v_dual_fmac_f32 v16, -0.5, v32 :: v_dual_sub_f32 v19, v33, v37
	v_dual_add_f32 v26, v34, v39 :: v_dual_add_f32 v27, v33, v37
	v_add_f32_e32 v15, v15, v13
	v_sub_f32_e32 v17, v17, v13
	v_fmac_f32_e32 v25, -0.5, v27
	v_sub_f32_e32 v33, v35, v39
	v_add_f32_e32 v35, v35, v39
	v_fmamk_f32 v27, v19, 0x3f5db3d7, v24
	v_fmac_f32_e32 v24, 0xbf5db3d7, v19
	s_delay_alu instid0(VALU_DEP_3) | instskip(NEXT) | instid1(VALU_DEP_1)
	v_fmac_f32_e32 v31, -0.5, v35
	v_fmamk_f32 v19, v12, 0xbf5db3d7, v31
	s_delay_alu instid0(VALU_DEP_1)
	v_dual_fmac_f32 v31, 0x3f5db3d7, v12 :: v_dual_mul_f32 v32, 0x3f5db3d7, v19
	v_add_f32_e32 v12, v15, v14
	v_fmamk_f32 v30, v17, 0xbf5db3d7, v25
	v_fmac_f32_e32 v25, 0x3f5db3d7, v17
	v_fmamk_f32 v17, v33, 0x3f5db3d7, v16
	v_fmac_f32_e32 v16, 0xbf5db3d7, v33
	v_sub_f32_e32 v14, v15, v14
	s_delay_alu instid0(VALU_DEP_3) | instskip(NEXT) | instid1(VALU_DEP_3)
	v_dual_sub_f32 v15, v18, v26 :: v_dual_fmac_f32 v32, 0.5, v17
	v_mul_f32_e32 v33, -0.5, v16
	v_add_f32_e32 v13, v18, v26
	s_delay_alu instid0(VALU_DEP_2) | instskip(NEXT) | instid1(VALU_DEP_1)
	v_fmac_f32_e32 v33, 0x3f5db3d7, v31
	v_add_f32_e32 v18, v24, v33
	v_sub_f32_e32 v26, v27, v32
	v_dual_sub_f32 v24, v24, v33 :: v_dual_mul_f32 v35, -0.5, v31
	s_delay_alu instid0(VALU_DEP_1) | instskip(SKIP_2) | instid1(VALU_DEP_1)
	v_fmac_f32_e32 v35, 0xbf5db3d7, v16
	v_add_f32_e32 v16, v27, v32
	v_mul_f32_e32 v34, 0xbf5db3d7, v17
	v_fmac_f32_e32 v34, 0.5, v19
	s_delay_alu instid0(VALU_DEP_4) | instskip(SKIP_1) | instid1(VALU_DEP_3)
	v_add_f32_e32 v19, v25, v35
	v_sub_f32_e32 v25, v25, v35
	v_add_f32_e32 v17, v30, v34
	v_sub_f32_e32 v27, v30, v34
	ds_store_2addr_b64 v21, v[12:13], v[16:17] offset1:14
	ds_store_2addr_b64 v21, v[18:19], v[14:15] offset0:28 offset1:42
	ds_store_2addr_b64 v21, v[26:27], v[24:25] offset0:56 offset1:70
	s_and_saveexec_b32 s1, s0
	s_cbranch_execz .LBB0_26
; %bb.25:
	v_dual_mov_b32 v13, 0 :: v_dual_add_nc_u32 v12, -2, v20
	s_delay_alu instid0(VALU_DEP_1) | instskip(NEXT) | instid1(VALU_DEP_1)
	v_cndmask_b32_e64 v12, v12, v29, s0
	v_mul_i32_i24_e32 v12, 5, v12
	s_delay_alu instid0(VALU_DEP_1) | instskip(NEXT) | instid1(VALU_DEP_1)
	v_lshlrev_b64_e32 v[12:13], 3, v[12:13]
	v_add_co_u32 v24, s0, s4, v12
	s_wait_alu 0xf1ff
	s_delay_alu instid0(VALU_DEP_2)
	v_add_co_ci_u32_e64 v25, s0, s5, v13, s0
	s_clause 0x2
	global_load_b128 v[12:15], v[24:25], off offset:56
	global_load_b128 v[16:19], v[24:25], off offset:72
	global_load_b64 v[24:25], v[24:25], off offset:88
	s_wait_loadcnt 0x2
	v_dual_mul_f32 v26, v5, v15 :: v_dual_mul_f32 v29, v3, v13
	s_wait_loadcnt 0x1
	v_dual_mul_f32 v27, v9, v19 :: v_dual_mul_f32 v30, v7, v17
	s_wait_loadcnt 0x0
	v_mul_f32_e32 v31, v11, v25
	v_mul_f32_e32 v17, v6, v17
	;; [unrolled: 1-line block ×4, first 2 shown]
	v_fma_f32 v2, v2, v12, -v29
	s_delay_alu instid0(VALU_DEP_4) | instskip(NEXT) | instid1(VALU_DEP_3)
	v_fmac_f32_e32 v17, v7, v16
	v_fmac_f32_e32 v13, v3, v12
	;; [unrolled: 1-line block ×3, first 2 shown]
	v_mul_f32_e32 v15, v4, v15
	v_mul_f32_e32 v19, v8, v19
	v_fma_f32 v4, v4, v14, -v26
	v_fma_f32 v8, v8, v18, -v27
	v_add_f32_e32 v12, v17, v25
	v_fmac_f32_e32 v15, v5, v14
	v_fma_f32 v5, v6, v16, -v30
	s_delay_alu instid0(VALU_DEP_2) | instskip(SKIP_1) | instid1(VALU_DEP_1)
	v_add_f32_e32 v14, v1, v15
	v_fma_f32 v6, v10, v24, -v31
	v_sub_f32_e32 v11, v5, v6
	v_fmac_f32_e32 v19, v9, v18
	v_add_f32_e32 v9, v5, v6
	v_add_f32_e32 v5, v2, v5
	s_delay_alu instid0(VALU_DEP_1) | instskip(NEXT) | instid1(VALU_DEP_4)
	v_add_f32_e32 v5, v5, v6
	v_add_f32_e32 v7, v15, v19
	s_delay_alu instid0(VALU_DEP_1) | instskip(SKIP_3) | instid1(VALU_DEP_2)
	v_fma_f32 v18, -0.5, v7, v1
	v_fma_f32 v7, -0.5, v9, v2
	v_sub_f32_e32 v3, v4, v8
	v_fma_f32 v2, -0.5, v12, v13
	v_dual_add_f32 v9, v14, v19 :: v_dual_fmamk_f32 v6, v3, 0x3f5db3d7, v18
	s_delay_alu instid0(VALU_DEP_2)
	v_fmamk_f32 v14, v11, 0x3f5db3d7, v2
	v_fmac_f32_e32 v18, 0xbf5db3d7, v3
	v_fmac_f32_e32 v2, 0xbf5db3d7, v11
	v_add_f32_e32 v16, v13, v17
	v_dual_sub_f32 v10, v17, v25 :: v_dual_add_f32 v17, v4, v8
	v_add_f32_e32 v4, v0, v4
	s_delay_alu instid0(VALU_DEP_3) | instskip(NEXT) | instid1(VALU_DEP_2)
	v_dual_add_f32 v12, v16, v25 :: v_dual_sub_f32 v15, v15, v19
	v_add_f32_e32 v4, v4, v8
	s_delay_alu instid0(VALU_DEP_4) | instskip(SKIP_1) | instid1(VALU_DEP_4)
	v_fmamk_f32 v8, v10, 0xbf5db3d7, v7
	v_fmac_f32_e32 v7, 0x3f5db3d7, v10
	v_dual_sub_f32 v1, v9, v12 :: v_dual_mul_f32 v10, -0.5, v14
	v_fma_f32 v13, -0.5, v17, v0
	v_dual_add_f32 v3, v9, v12 :: v_dual_mul_f32 v12, 0x3f5db3d7, v2
	v_sub_f32_e32 v0, v4, v5
	s_delay_alu instid0(VALU_DEP_4) | instskip(NEXT) | instid1(VALU_DEP_4)
	v_fmac_f32_e32 v10, 0xbf5db3d7, v8
	v_fmamk_f32 v16, v15, 0xbf5db3d7, v13
	v_fmac_f32_e32 v13, 0x3f5db3d7, v15
	v_fmac_f32_e32 v12, 0.5, v7
	v_mul_f32_e32 v11, 0xbf5db3d7, v7
	v_mul_f32_e32 v15, -0.5, v8
	v_add_f32_e32 v9, v6, v10
	s_delay_alu instid0(VALU_DEP_3) | instskip(NEXT) | instid1(VALU_DEP_3)
	v_fmac_f32_e32 v11, 0.5, v2
	v_dual_fmac_f32 v15, 0x3f5db3d7, v14 :: v_dual_add_f32 v2, v4, v5
	v_dual_sub_f32 v5, v6, v10 :: v_dual_sub_f32 v6, v13, v12
	s_delay_alu instid0(VALU_DEP_3) | instskip(SKIP_1) | instid1(VALU_DEP_4)
	v_sub_f32_e32 v7, v18, v11
	v_dual_add_f32 v11, v18, v11 :: v_dual_add_f32 v10, v13, v12
	v_add_f32_e32 v8, v16, v15
	v_sub_f32_e32 v4, v16, v15
	ds_store_2addr_b64 v21, v[2:3], v[10:11] offset0:12 offset1:26
	ds_store_2addr_b64 v21, v[8:9], v[0:1] offset0:40 offset1:54
	;; [unrolled: 1-line block ×3, first 2 shown]
.LBB0_26:
	s_wait_alu 0xfffe
	s_or_b32 exec_lo, exec_lo, s1
	global_wb scope:SCOPE_SE
	s_wait_dscnt 0x0
	s_barrier_signal -1
	s_barrier_wait -1
	global_inv scope:SCOPE_SE
	s_and_saveexec_b32 s0, vcc_lo
	s_cbranch_execz .LBB0_28
; %bb.27:
	v_dual_mov_b32 v21, 0 :: v_dual_add_nc_u32 v4, 12, v20
	v_lshl_add_u32 v26, v20, 3, v28
	v_add_co_u32 v28, vcc_lo, s8, v22
	s_delay_alu instid0(VALU_DEP_3)
	v_dual_mov_b32 v5, v21 :: v_dual_add_nc_u32 v8, 24, v20
	v_lshlrev_b64_e32 v[6:7], 3, v[20:21]
	v_dual_mov_b32 v9, v21 :: v_dual_add_nc_u32 v10, 36, v20
	s_wait_alu 0xfffd
	v_add_co_ci_u32_e32 v29, vcc_lo, s9, v23, vcc_lo
	v_lshlrev_b64_e32 v[4:5], 3, v[4:5]
	s_delay_alu instid0(VALU_DEP_4) | instskip(SKIP_3) | instid1(VALU_DEP_4)
	v_add_co_u32 v12, vcc_lo, v28, v6
	v_lshlrev_b64_e32 v[8:9], 3, v[8:9]
	s_wait_alu 0xfffd
	v_add_co_ci_u32_e32 v13, vcc_lo, v29, v7, vcc_lo
	v_add_co_u32 v14, vcc_lo, v28, v4
	v_mov_b32_e32 v11, v21
	s_wait_alu 0xfffd
	v_add_co_ci_u32_e32 v15, vcc_lo, v29, v5, vcc_lo
	v_add_co_u32 v16, vcc_lo, v28, v8
	s_wait_alu 0xfffd
	v_add_co_ci_u32_e32 v17, vcc_lo, v29, v9, vcc_lo
	v_lshlrev_b64_e32 v[8:9], 3, v[10:11]
	v_add_nc_u32_e32 v10, 48, v20
	ds_load_2addr_b64 v[0:3], v26 offset1:12
	ds_load_2addr_b64 v[4:7], v26 offset0:24 offset1:36
	v_dual_mov_b32 v19, v21 :: v_dual_add_nc_u32 v18, 60, v20
	v_add_co_u32 v22, vcc_lo, v28, v8
	s_wait_alu 0xfffd
	v_add_co_ci_u32_e32 v23, vcc_lo, v29, v9, vcc_lo
	v_lshlrev_b64_e32 v[24:25], 3, v[10:11]
	ds_load_2addr_b64 v[8:11], v26 offset0:48 offset1:60
	ds_load_b64 v[26:27], v26 offset:576
	v_add_nc_u32_e32 v20, 0x48, v20
	v_lshlrev_b64_e32 v[18:19], 3, v[18:19]
	v_add_co_u32 v24, vcc_lo, v28, v24
	s_delay_alu instid0(VALU_DEP_3) | instskip(SKIP_2) | instid1(VALU_DEP_4)
	v_lshlrev_b64_e32 v[20:21], 3, v[20:21]
	s_wait_alu 0xfffd
	v_add_co_ci_u32_e32 v25, vcc_lo, v29, v25, vcc_lo
	v_add_co_u32 v18, vcc_lo, v28, v18
	s_wait_alu 0xfffd
	v_add_co_ci_u32_e32 v19, vcc_lo, v29, v19, vcc_lo
	v_add_co_u32 v20, vcc_lo, v28, v20
	s_wait_alu 0xfffd
	v_add_co_ci_u32_e32 v21, vcc_lo, v29, v21, vcc_lo
	s_wait_dscnt 0x3
	s_clause 0x1
	global_store_b64 v[12:13], v[0:1], off
	global_store_b64 v[14:15], v[2:3], off
	s_wait_dscnt 0x2
	s_clause 0x1
	global_store_b64 v[16:17], v[4:5], off
	global_store_b64 v[22:23], v[6:7], off
	;; [unrolled: 4-line block ×3, first 2 shown]
	s_wait_dscnt 0x0
	global_store_b64 v[20:21], v[26:27], off
.LBB0_28:
	s_nop 0
	s_sendmsg sendmsg(MSG_DEALLOC_VGPRS)
	s_endpgm
	.section	.rodata,"a",@progbits
	.p2align	6, 0x0
	.amdhsa_kernel fft_rtc_fwd_len84_factors_7_2_6_wgs_120_tpt_12_halfLds_sp_ip_CI_unitstride_sbrr_C2R_dirReg
		.amdhsa_group_segment_fixed_size 0
		.amdhsa_private_segment_fixed_size 0
		.amdhsa_kernarg_size 88
		.amdhsa_user_sgpr_count 2
		.amdhsa_user_sgpr_dispatch_ptr 0
		.amdhsa_user_sgpr_queue_ptr 0
		.amdhsa_user_sgpr_kernarg_segment_ptr 1
		.amdhsa_user_sgpr_dispatch_id 0
		.amdhsa_user_sgpr_private_segment_size 0
		.amdhsa_wavefront_size32 1
		.amdhsa_uses_dynamic_stack 0
		.amdhsa_enable_private_segment 0
		.amdhsa_system_sgpr_workgroup_id_x 1
		.amdhsa_system_sgpr_workgroup_id_y 0
		.amdhsa_system_sgpr_workgroup_id_z 0
		.amdhsa_system_sgpr_workgroup_info 0
		.amdhsa_system_vgpr_workitem_id 0
		.amdhsa_next_free_vgpr 45
		.amdhsa_next_free_sgpr 32
		.amdhsa_reserve_vcc 1
		.amdhsa_float_round_mode_32 0
		.amdhsa_float_round_mode_16_64 0
		.amdhsa_float_denorm_mode_32 3
		.amdhsa_float_denorm_mode_16_64 3
		.amdhsa_fp16_overflow 0
		.amdhsa_workgroup_processor_mode 1
		.amdhsa_memory_ordered 1
		.amdhsa_forward_progress 0
		.amdhsa_round_robin_scheduling 0
		.amdhsa_exception_fp_ieee_invalid_op 0
		.amdhsa_exception_fp_denorm_src 0
		.amdhsa_exception_fp_ieee_div_zero 0
		.amdhsa_exception_fp_ieee_overflow 0
		.amdhsa_exception_fp_ieee_underflow 0
		.amdhsa_exception_fp_ieee_inexact 0
		.amdhsa_exception_int_div_zero 0
	.end_amdhsa_kernel
	.text
.Lfunc_end0:
	.size	fft_rtc_fwd_len84_factors_7_2_6_wgs_120_tpt_12_halfLds_sp_ip_CI_unitstride_sbrr_C2R_dirReg, .Lfunc_end0-fft_rtc_fwd_len84_factors_7_2_6_wgs_120_tpt_12_halfLds_sp_ip_CI_unitstride_sbrr_C2R_dirReg
                                        ; -- End function
	.section	.AMDGPU.csdata,"",@progbits
; Kernel info:
; codeLenInByte = 5608
; NumSgprs: 34
; NumVgprs: 45
; ScratchSize: 0
; MemoryBound: 0
; FloatMode: 240
; IeeeMode: 1
; LDSByteSize: 0 bytes/workgroup (compile time only)
; SGPRBlocks: 4
; VGPRBlocks: 5
; NumSGPRsForWavesPerEU: 34
; NumVGPRsForWavesPerEU: 45
; Occupancy: 16
; WaveLimiterHint : 1
; COMPUTE_PGM_RSRC2:SCRATCH_EN: 0
; COMPUTE_PGM_RSRC2:USER_SGPR: 2
; COMPUTE_PGM_RSRC2:TRAP_HANDLER: 0
; COMPUTE_PGM_RSRC2:TGID_X_EN: 1
; COMPUTE_PGM_RSRC2:TGID_Y_EN: 0
; COMPUTE_PGM_RSRC2:TGID_Z_EN: 0
; COMPUTE_PGM_RSRC2:TIDIG_COMP_CNT: 0
	.text
	.p2alignl 7, 3214868480
	.fill 96, 4, 3214868480
	.type	__hip_cuid_c833fcf3de203897,@object ; @__hip_cuid_c833fcf3de203897
	.section	.bss,"aw",@nobits
	.globl	__hip_cuid_c833fcf3de203897
__hip_cuid_c833fcf3de203897:
	.byte	0                               ; 0x0
	.size	__hip_cuid_c833fcf3de203897, 1

	.ident	"AMD clang version 19.0.0git (https://github.com/RadeonOpenCompute/llvm-project roc-6.4.0 25133 c7fe45cf4b819c5991fe208aaa96edf142730f1d)"
	.section	".note.GNU-stack","",@progbits
	.addrsig
	.addrsig_sym __hip_cuid_c833fcf3de203897
	.amdgpu_metadata
---
amdhsa.kernels:
  - .args:
      - .actual_access:  read_only
        .address_space:  global
        .offset:         0
        .size:           8
        .value_kind:     global_buffer
      - .offset:         8
        .size:           8
        .value_kind:     by_value
      - .actual_access:  read_only
        .address_space:  global
        .offset:         16
        .size:           8
        .value_kind:     global_buffer
      - .actual_access:  read_only
        .address_space:  global
        .offset:         24
        .size:           8
        .value_kind:     global_buffer
      - .offset:         32
        .size:           8
        .value_kind:     by_value
      - .actual_access:  read_only
        .address_space:  global
        .offset:         40
        .size:           8
        .value_kind:     global_buffer
      - .actual_access:  read_only
        .address_space:  global
        .offset:         48
        .size:           8
        .value_kind:     global_buffer
      - .offset:         56
        .size:           4
        .value_kind:     by_value
      - .actual_access:  read_only
        .address_space:  global
        .offset:         64
        .size:           8
        .value_kind:     global_buffer
      - .actual_access:  read_only
        .address_space:  global
        .offset:         72
        .size:           8
        .value_kind:     global_buffer
      - .address_space:  global
        .offset:         80
        .size:           8
        .value_kind:     global_buffer
    .group_segment_fixed_size: 0
    .kernarg_segment_align: 8
    .kernarg_segment_size: 88
    .language:       OpenCL C
    .language_version:
      - 2
      - 0
    .max_flat_workgroup_size: 120
    .name:           fft_rtc_fwd_len84_factors_7_2_6_wgs_120_tpt_12_halfLds_sp_ip_CI_unitstride_sbrr_C2R_dirReg
    .private_segment_fixed_size: 0
    .sgpr_count:     34
    .sgpr_spill_count: 0
    .symbol:         fft_rtc_fwd_len84_factors_7_2_6_wgs_120_tpt_12_halfLds_sp_ip_CI_unitstride_sbrr_C2R_dirReg.kd
    .uniform_work_group_size: 1
    .uses_dynamic_stack: false
    .vgpr_count:     45
    .vgpr_spill_count: 0
    .wavefront_size: 32
    .workgroup_processor_mode: 1
amdhsa.target:   amdgcn-amd-amdhsa--gfx1201
amdhsa.version:
  - 1
  - 2
...

	.end_amdgpu_metadata
